;; amdgpu-corpus repo=ROCm/rocFFT kind=compiled arch=gfx950 opt=O3
	.text
	.amdgcn_target "amdgcn-amd-amdhsa--gfx950"
	.amdhsa_code_object_version 6
	.protected	fft_rtc_fwd_len1694_factors_11_2_11_7_wgs_154_tpt_154_halfLds_sp_ip_CI_unitstride_sbrr_dirReg ; -- Begin function fft_rtc_fwd_len1694_factors_11_2_11_7_wgs_154_tpt_154_halfLds_sp_ip_CI_unitstride_sbrr_dirReg
	.globl	fft_rtc_fwd_len1694_factors_11_2_11_7_wgs_154_tpt_154_halfLds_sp_ip_CI_unitstride_sbrr_dirReg
	.p2align	8
	.type	fft_rtc_fwd_len1694_factors_11_2_11_7_wgs_154_tpt_154_halfLds_sp_ip_CI_unitstride_sbrr_dirReg,@function
fft_rtc_fwd_len1694_factors_11_2_11_7_wgs_154_tpt_154_halfLds_sp_ip_CI_unitstride_sbrr_dirReg: ; @fft_rtc_fwd_len1694_factors_11_2_11_7_wgs_154_tpt_154_halfLds_sp_ip_CI_unitstride_sbrr_dirReg
; %bb.0:
	s_load_dwordx2 s[8:9], s[0:1], 0x50
	s_load_dwordx4 s[4:7], s[0:1], 0x0
	s_load_dwordx2 s[10:11], s[0:1], 0x18
	v_mul_u32_u24_e32 v1, 0x1aa, v0
	v_add_u32_sdwa v6, s2, v1 dst_sel:DWORD dst_unused:UNUSED_PAD src0_sel:DWORD src1_sel:WORD_1
	v_mov_b32_e32 v4, 0
	s_waitcnt lgkmcnt(0)
	v_cmp_lt_u64_e64 s[2:3], s[6:7], 2
	v_mov_b32_e32 v7, v4
	s_and_b64 vcc, exec, s[2:3]
	v_mov_b64_e32 v[2:3], 0
	s_cbranch_vccnz .LBB0_8
; %bb.1:
	s_load_dwordx2 s[2:3], s[0:1], 0x10
	s_add_u32 s12, s10, 8
	s_addc_u32 s13, s11, 0
	s_mov_b64 s[14:15], 1
	v_mov_b64_e32 v[2:3], 0
	s_waitcnt lgkmcnt(0)
	s_add_u32 s16, s2, 8
	s_addc_u32 s17, s3, 0
.LBB0_2:                                ; =>This Inner Loop Header: Depth=1
	s_load_dwordx2 s[18:19], s[16:17], 0x0
                                        ; implicit-def: $vgpr8_vgpr9
	s_waitcnt lgkmcnt(0)
	v_or_b32_e32 v5, s19, v7
	v_cmp_ne_u64_e32 vcc, 0, v[4:5]
	s_and_saveexec_b64 s[2:3], vcc
	s_xor_b64 s[20:21], exec, s[2:3]
	s_cbranch_execz .LBB0_4
; %bb.3:                                ;   in Loop: Header=BB0_2 Depth=1
	v_cvt_f32_u32_e32 v1, s18
	v_cvt_f32_u32_e32 v5, s19
	s_sub_u32 s2, 0, s18
	s_subb_u32 s3, 0, s19
	v_fmac_f32_e32 v1, 0x4f800000, v5
	v_rcp_f32_e32 v1, v1
	s_nop 0
	v_mul_f32_e32 v1, 0x5f7ffffc, v1
	v_mul_f32_e32 v5, 0x2f800000, v1
	v_trunc_f32_e32 v5, v5
	v_fmac_f32_e32 v1, 0xcf800000, v5
	v_cvt_u32_f32_e32 v5, v5
	v_cvt_u32_f32_e32 v1, v1
	v_mul_lo_u32 v8, s2, v5
	v_mul_hi_u32 v10, s2, v1
	v_mul_lo_u32 v9, s3, v1
	v_add_u32_e32 v10, v10, v8
	v_mul_lo_u32 v12, s2, v1
	v_add_u32_e32 v13, v10, v9
	v_mul_hi_u32 v8, v1, v12
	v_mul_hi_u32 v11, v1, v13
	v_mul_lo_u32 v10, v1, v13
	v_mov_b32_e32 v9, v4
	v_lshl_add_u64 v[8:9], v[8:9], 0, v[10:11]
	v_mul_hi_u32 v11, v5, v12
	v_mul_lo_u32 v12, v5, v12
	v_add_co_u32_e32 v8, vcc, v8, v12
	v_mul_hi_u32 v10, v5, v13
	s_nop 0
	v_addc_co_u32_e32 v8, vcc, v9, v11, vcc
	v_mov_b32_e32 v9, v4
	s_nop 0
	v_addc_co_u32_e32 v11, vcc, 0, v10, vcc
	v_mul_lo_u32 v10, v5, v13
	v_lshl_add_u64 v[8:9], v[8:9], 0, v[10:11]
	v_add_co_u32_e32 v1, vcc, v1, v8
	v_mul_lo_u32 v10, s2, v1
	s_nop 0
	v_addc_co_u32_e32 v5, vcc, v5, v9, vcc
	v_mul_lo_u32 v8, s2, v5
	v_mul_hi_u32 v9, s2, v1
	v_add_u32_e32 v8, v9, v8
	v_mul_lo_u32 v9, s3, v1
	v_add_u32_e32 v12, v8, v9
	v_mul_hi_u32 v14, v5, v10
	v_mul_lo_u32 v15, v5, v10
	v_mul_hi_u32 v9, v1, v12
	v_mul_lo_u32 v8, v1, v12
	v_mul_hi_u32 v10, v1, v10
	v_mov_b32_e32 v11, v4
	v_lshl_add_u64 v[8:9], v[10:11], 0, v[8:9]
	v_add_co_u32_e32 v8, vcc, v8, v15
	v_mul_hi_u32 v13, v5, v12
	s_nop 0
	v_addc_co_u32_e32 v8, vcc, v9, v14, vcc
	v_mul_lo_u32 v10, v5, v12
	s_nop 0
	v_addc_co_u32_e32 v11, vcc, 0, v13, vcc
	v_mov_b32_e32 v9, v4
	v_lshl_add_u64 v[8:9], v[8:9], 0, v[10:11]
	v_add_co_u32_e32 v1, vcc, v1, v8
	v_mul_hi_u32 v10, v6, v1
	s_nop 0
	v_addc_co_u32_e32 v5, vcc, v5, v9, vcc
	v_mad_u64_u32 v[8:9], s[2:3], v6, v5, 0
	v_mov_b32_e32 v11, v4
	v_lshl_add_u64 v[8:9], v[10:11], 0, v[8:9]
	v_mad_u64_u32 v[12:13], s[2:3], v7, v1, 0
	v_add_co_u32_e32 v1, vcc, v8, v12
	v_mad_u64_u32 v[10:11], s[2:3], v7, v5, 0
	s_nop 0
	v_addc_co_u32_e32 v8, vcc, v9, v13, vcc
	v_mov_b32_e32 v9, v4
	s_nop 0
	v_addc_co_u32_e32 v11, vcc, 0, v11, vcc
	v_lshl_add_u64 v[8:9], v[8:9], 0, v[10:11]
	v_mul_lo_u32 v1, s19, v8
	v_mul_lo_u32 v5, s18, v9
	v_mad_u64_u32 v[10:11], s[2:3], s18, v8, 0
	v_add3_u32 v1, v11, v5, v1
	v_sub_u32_e32 v5, v7, v1
	v_mov_b32_e32 v11, s19
	v_sub_co_u32_e32 v14, vcc, v6, v10
	v_lshl_add_u64 v[12:13], v[8:9], 0, 1
	s_nop 0
	v_subb_co_u32_e64 v5, s[2:3], v5, v11, vcc
	v_subrev_co_u32_e64 v10, s[2:3], s18, v14
	v_subb_co_u32_e32 v1, vcc, v7, v1, vcc
	s_nop 0
	v_subbrev_co_u32_e64 v5, s[2:3], 0, v5, s[2:3]
	v_cmp_le_u32_e64 s[2:3], s19, v5
	v_cmp_le_u32_e32 vcc, s19, v1
	s_nop 0
	v_cndmask_b32_e64 v11, 0, -1, s[2:3]
	v_cmp_le_u32_e64 s[2:3], s18, v10
	s_nop 1
	v_cndmask_b32_e64 v10, 0, -1, s[2:3]
	v_cmp_eq_u32_e64 s[2:3], s19, v5
	s_nop 1
	v_cndmask_b32_e64 v5, v11, v10, s[2:3]
	v_lshl_add_u64 v[10:11], v[8:9], 0, 2
	v_cmp_ne_u32_e64 s[2:3], 0, v5
	s_nop 1
	v_cndmask_b32_e64 v5, v13, v11, s[2:3]
	v_cndmask_b32_e64 v11, 0, -1, vcc
	v_cmp_le_u32_e32 vcc, s18, v14
	s_nop 1
	v_cndmask_b32_e64 v13, 0, -1, vcc
	v_cmp_eq_u32_e32 vcc, s19, v1
	s_nop 1
	v_cndmask_b32_e32 v1, v11, v13, vcc
	v_cmp_ne_u32_e32 vcc, 0, v1
	v_cndmask_b32_e64 v1, v12, v10, s[2:3]
	s_nop 0
	v_cndmask_b32_e32 v9, v9, v5, vcc
	v_cndmask_b32_e32 v8, v8, v1, vcc
.LBB0_4:                                ;   in Loop: Header=BB0_2 Depth=1
	s_andn2_saveexec_b64 s[2:3], s[20:21]
	s_cbranch_execz .LBB0_6
; %bb.5:                                ;   in Loop: Header=BB0_2 Depth=1
	v_cvt_f32_u32_e32 v1, s18
	s_sub_i32 s20, 0, s18
	v_rcp_iflag_f32_e32 v1, v1
	s_nop 0
	v_mul_f32_e32 v1, 0x4f7ffffe, v1
	v_cvt_u32_f32_e32 v1, v1
	v_mul_lo_u32 v5, s20, v1
	v_mul_hi_u32 v5, v1, v5
	v_add_u32_e32 v1, v1, v5
	v_mul_hi_u32 v1, v6, v1
	v_mul_lo_u32 v5, v1, s18
	v_sub_u32_e32 v5, v6, v5
	v_add_u32_e32 v8, 1, v1
	v_subrev_u32_e32 v9, s18, v5
	v_cmp_le_u32_e32 vcc, s18, v5
	s_nop 1
	v_cndmask_b32_e32 v5, v5, v9, vcc
	v_cndmask_b32_e32 v1, v1, v8, vcc
	v_add_u32_e32 v8, 1, v1
	v_cmp_le_u32_e32 vcc, s18, v5
	v_mov_b32_e32 v9, v4
	s_nop 0
	v_cndmask_b32_e32 v8, v1, v8, vcc
.LBB0_6:                                ;   in Loop: Header=BB0_2 Depth=1
	s_or_b64 exec, exec, s[2:3]
	v_mad_u64_u32 v[10:11], s[2:3], v8, s18, 0
	s_load_dwordx2 s[2:3], s[12:13], 0x0
	v_mul_lo_u32 v1, v9, s18
	v_mul_lo_u32 v5, v8, s19
	v_add3_u32 v1, v11, v5, v1
	v_sub_co_u32_e32 v5, vcc, v6, v10
	s_add_u32 s14, s14, 1
	s_nop 0
	v_subb_co_u32_e32 v1, vcc, v7, v1, vcc
	s_addc_u32 s15, s15, 0
	s_waitcnt lgkmcnt(0)
	v_mul_lo_u32 v1, s2, v1
	v_mul_lo_u32 v6, s3, v5
	v_mad_u64_u32 v[2:3], s[2:3], s2, v5, v[2:3]
	s_add_u32 s12, s12, 8
	v_add3_u32 v3, v6, v3, v1
	s_addc_u32 s13, s13, 0
	v_mov_b64_e32 v[6:7], s[6:7]
	s_add_u32 s16, s16, 8
	v_cmp_ge_u64_e32 vcc, s[14:15], v[6:7]
	s_addc_u32 s17, s17, 0
	s_cbranch_vccnz .LBB0_9
; %bb.7:                                ;   in Loop: Header=BB0_2 Depth=1
	v_mov_b64_e32 v[6:7], v[8:9]
	s_branch .LBB0_2
.LBB0_8:
	v_mov_b64_e32 v[8:9], v[6:7]
.LBB0_9:
	s_lshl_b64 s[2:3], s[6:7], 3
	s_add_u32 s2, s10, s2
	s_addc_u32 s3, s11, s3
	s_load_dwordx2 s[6:7], s[2:3], 0x0
	s_load_dwordx2 s[10:11], s[0:1], 0x20
	s_mov_b32 s2, 0x1a98ef7
                                        ; implicit-def: $vgpr24
                                        ; implicit-def: $vgpr16
                                        ; implicit-def: $vgpr22
                                        ; implicit-def: $vgpr14
                                        ; implicit-def: $vgpr10
                                        ; implicit-def: $vgpr12
                                        ; implicit-def: $vgpr18
                                        ; implicit-def: $vgpr20
                                        ; implicit-def: $vgpr6
	s_waitcnt lgkmcnt(0)
	v_mul_lo_u32 v1, s6, v9
	v_mul_lo_u32 v4, s7, v8
	v_mad_u64_u32 v[2:3], s[0:1], s6, v8, v[2:3]
	v_add3_u32 v3, v4, v3, v1
	v_mul_hi_u32 v1, v0, s2
	v_mul_u32_u24_e32 v1, 0x9a, v1
	v_cmp_gt_u64_e64 s[0:1], s[10:11], v[8:9]
	v_sub_u32_e32 v0, v0, v1
	v_mov_b64_e32 v[4:5], 0
	v_lshl_add_u64 v[2:3], v[2:3], 3, s[8:9]
                                        ; implicit-def: $vgpr8
	s_and_saveexec_b64 s[2:3], s[0:1]
	s_cbranch_execz .LBB0_11
; %bb.10:
	v_mov_b32_e32 v1, 0
	v_lshl_add_u64 v[6:7], v[0:1], 3, v[2:3]
	v_add_co_u32_e32 v18, vcc, 0x1000, v6
	global_load_dwordx2 v[4:5], v[6:7], off
	global_load_dwordx2 v[26:27], v[6:7], off offset:1232
	global_load_dwordx2 v[22:23], v[6:7], off offset:2464
	;; [unrolled: 1-line block ×3, first 2 shown]
	v_addc_co_u32_e32 v19, vcc, 0, v7, vcc
	v_add_co_u32_e32 v24, vcc, 0x2000, v6
	s_nop 1
	v_addc_co_u32_e32 v25, vcc, 0, v7, vcc
	global_load_dwordx2 v[14:15], v[18:19], off offset:832
	global_load_dwordx2 v[8:9], v[18:19], off offset:2064
	;; [unrolled: 1-line block ×4, first 2 shown]
	v_add_co_u32_e32 v28, vcc, 0x3000, v6
	s_nop 1
	v_addc_co_u32_e32 v29, vcc, 0, v7, vcc
	global_load_dwordx2 v[18:19], v[24:25], off offset:1664
	global_load_dwordx2 v[20:21], v[24:25], off offset:2896
	;; [unrolled: 1-line block ×3, first 2 shown]
	s_waitcnt vmcnt(9)
	v_mov_b32_e32 v25, v27
	s_waitcnt vmcnt(7)
	v_mov_b32_e32 v24, v17
	v_mov_b32_e32 v17, v26
.LBB0_11:
	s_or_b64 exec, exec, s[2:3]
	s_waitcnt vmcnt(1)
	v_pk_add_f32 v[26:27], v[22:23], v[20:21]
	v_pk_add_f32 v[30:31], v[22:23], v[20:21] neg_lo:[0,1] neg_hi:[0,1]
	s_mov_b32 s8, 0x3ed4b147
	v_mov_b32_e32 v28, v26
	v_mov_b32_e32 v29, v31
	s_mov_b32 s9, 0xbf68dda4
	v_add_f32_e32 v1, v17, v4
	v_pk_mul_f32 v[36:37], v[28:29], s[8:9]
	v_add_f32_e32 v32, v22, v1
	v_mov_b32_e32 v1, v36
	v_mov_b32_e32 v34, v16
	;; [unrolled: 1-line block ×3, first 2 shown]
	v_pk_fma_f32 v[38:39], v[28:29], s[8:9], v[0:1] neg_lo:[1,0,0] neg_hi:[1,0,0]
	v_pk_add_f32 v[28:29], v[34:35], v[18:19]
	v_pk_add_f32 v[40:41], v[34:35], v[18:19] neg_lo:[0,1] neg_hi:[0,1]
	s_mov_b32 s10, 0xbe11bafb
	v_mov_b32_e32 v34, v28
	v_mov_b32_e32 v35, v41
	s_mov_b32 s11, 0xbf7d64f0
	v_pk_mul_f32 v[48:49], v[34:35], s[10:11]
	v_pk_add_f32 v[44:45], v[14:15], v[12:13] neg_lo:[0,1] neg_hi:[0,1]
	v_mov_b32_e32 v1, v48
	v_pk_fma_f32 v[52:53], v[34:35], s[10:11], v[0:1] neg_lo:[1,0,0] neg_hi:[1,0,0]
	v_pk_add_f32 v[34:35], v[14:15], v[12:13]
	s_mov_b32 s12, 0xbf27a4f4
	v_mov_b32_e32 v42, v34
	v_mov_b32_e32 v43, v45
	s_mov_b32 s13, 0xbf4178ce
	v_pk_mul_f32 v[54:55], v[42:43], s[12:13]
	v_pk_add_f32 v[46:47], v[8:9], v[10:11] neg_lo:[0,1] neg_hi:[0,1]
	v_mov_b32_e32 v1, v54
	v_pk_fma_f32 v[56:57], v[42:43], s[12:13], v[0:1] neg_lo:[1,0,0] neg_hi:[1,0,0]
	v_pk_add_f32 v[42:43], v[8:9], v[10:11]
	s_mov_b32 s2, 0xbf75a155
	v_mov_b32_e32 v50, v42
	v_mov_b32_e32 v51, v47
	s_mov_b32 s3, 0xbe903f40
	v_pk_mul_f32 v[58:59], v[50:51], s[2:3]
	s_waitcnt vmcnt(0)
	v_mov_b32_e32 v33, v6
	v_mov_b32_e32 v1, v58
	v_pk_add_f32 v[32:33], v[16:17], v[32:33]
	v_pk_add_f32 v[62:63], v[24:25], v[6:7] neg_lo:[0,1] neg_hi:[0,1]
	v_pk_fma_f32 v[60:61], v[50:51], s[2:3], v[0:1] neg_lo:[1,0,0] neg_hi:[1,0,0]
	v_mov_b32_e32 v51, 0x3f575c64
	v_mov_b32_e32 v50, v14
	v_mul_f32_e32 v65, 0xbf0a6770, v63
	v_mov_b32_e32 v64, v8
	v_pk_add_f32 v[66:67], v[14:15], v[32:33]
	v_pk_fma_f32 v[64:65], v[50:51], v[32:33], v[64:65] neg_lo:[0,0,1] neg_hi:[0,0,1]
	v_pk_add_f32 v[66:67], v[66:67], v[8:9]
	v_mov_b32_e32 v64, v10
	v_mov_b32_e32 v67, v65
	;; [unrolled: 1-line block ×3, first 2 shown]
	v_pk_add_f32 v[64:65], v[64:65], v[66:67]
	v_mov_b32_e32 v38, v12
	v_pk_add_f32 v[38:39], v[38:39], v[64:65]
	v_mov_b32_e32 v52, v18
	;; [unrolled: 2-line block ×4, first 2 shown]
	v_mad_u32_u24 v8, v0, 44, 0
	v_pk_add_f32 v[38:39], v[60:61], v[38:39]
	s_mov_b32 s14, s8
	s_mov_b32 s15, s10
	ds_write2_b32 v8, v38, v39 offset1:1
	s_mov_b32 s18, s9
	s_mov_b32 s19, s11
	;; [unrolled: 1-line block ×4, first 2 shown]
	v_pk_mul_f32 v[38:39], v[32:33], s[14:15] op_sel:[1,0]
	s_mov_b32 s21, 0x3e903f40
	s_mov_b32 s20, s13
	v_pk_fma_f32 v[52:53], v[62:63], s[18:19], v[38:39] op_sel:[1,0,0] neg_lo:[1,0,0] neg_hi:[1,0,0]
	v_pk_mul_f32 v[56:57], v[26:27], s[6:7] op_sel_hi:[0,1]
	v_pk_add_f32 v[52:53], v[52:53], v[4:5] op_sel_hi:[1,0]
	v_pk_fma_f32 v[60:61], v[30:31], s[20:21], v[56:57] op_sel:[1,0,0] neg_lo:[1,0,0] neg_hi:[1,0,0]
	s_mov_b32 s16, s2
	s_mov_b32 s17, s8
	v_pk_add_f32 v[52:53], v[60:61], v[52:53]
	s_mov_b32 s35, 0x3f68dda4
	s_mov_b32 s34, s21
	v_pk_mul_f32 v[60:61], v[28:29], s[16:17] op_sel_hi:[0,1]
	v_pk_fma_f32 v[64:65], v[40:41], s[34:35], v[60:61] op_sel:[1,0,0] neg_lo:[1,0,0] neg_hi:[1,0,0]
	s_mov_b32 s28, 0x3f7d64f0
	s_mov_b32 s23, 0x3f575c64
	;; [unrolled: 1-line block ×3, first 2 shown]
	v_pk_add_f32 v[52:53], v[64:65], v[52:53]
	s_mov_b32 s29, 0xbf0a6770
	v_pk_mul_f32 v[64:65], v[34:35], s[22:23] op_sel_hi:[0,1]
	v_pk_fma_f32 v[66:67], v[44:45], s[28:29], v[64:65] op_sel:[1,0,0] neg_lo:[1,0,0] neg_hi:[1,0,0]
	s_mov_b32 s24, s23
	s_mov_b32 s25, s12
	v_pk_add_f32 v[52:53], v[66:67], v[52:53]
	s_mov_b32 s36, 0x3f0a6770
	s_mov_b32 s37, s13
	v_pk_mul_f32 v[66:67], v[42:43], s[24:25] op_sel_hi:[0,1]
	v_pk_fma_f32 v[68:69], v[46:47], s[36:37], v[66:67] op_sel:[1,0,0] neg_lo:[1,0,0] neg_hi:[1,0,0]
	s_mov_b32 s26, s13
	v_pk_add_f32 v[52:53], v[68:69], v[52:53]
	ds_write2_b32 v8, v52, v53 offset0:2 offset1:3
	s_mov_b32 s27, s3
	v_pk_mul_f32 v[52:53], v[32:33], s[6:7] op_sel:[1,0]
	s_mov_b32 s30, s28
	s_mov_b32 s31, s36
	v_pk_fma_f32 v[68:69], v[62:63], s[26:27], v[52:53] op_sel:[1,0,0] neg_lo:[1,0,0] neg_hi:[1,0,0]
	v_pk_mul_f32 v[70:71], v[26:27], s[22:23] op_sel_hi:[0,1]
	v_pk_add_f32 v[68:69], v[68:69], v[4:5] op_sel_hi:[1,0]
	v_pk_fma_f32 v[72:73], v[30:31], s[30:31], v[70:71] op_sel:[1,0,0] neg_lo:[1,0,0] neg_hi:[1,0,0]
	s_mov_b32 s40, s29
	v_pk_add_f32 v[68:69], v[72:73], v[68:69]
	s_mov_b32 s41, s13
	v_pk_mul_f32 v[72:73], v[28:29], s[24:25] op_sel_hi:[0,1]
	v_pk_fma_f32 v[74:75], v[40:41], s[40:41], v[72:73] op_sel:[1,0,0] neg_lo:[1,0,0] neg_hi:[1,0,0]
	s_mov_b32 s38, s3
	v_pk_add_f32 v[68:69], v[74:75], v[68:69]
	s_mov_b32 s39, s35
	v_pk_mul_f32 v[74:75], v[34:35], s[16:17] op_sel_hi:[0,1]
	;; [unrolled: 5-line block ×3, first 2 shown]
	v_pk_fma_f32 v[78:79], v[46:47], s[42:43], v[76:77] op_sel:[1,0,0] neg_lo:[1,0,0] neg_hi:[1,0,0]
	v_pk_fma_f32 v[52:53], v[62:63], s[26:27], v[52:53] op_sel:[1,0,0]
	v_pk_add_f32 v[68:69], v[78:79], v[68:69]
	ds_write2_b32 v8, v68, v69 offset0:4 offset1:5
	v_pk_fma_f32 v[68:69], v[30:31], s[30:31], v[70:71] op_sel:[1,0,0]
	v_pk_add_f32 v[52:53], v[52:53], v[4:5] op_sel_hi:[1,0]
	v_pk_mul_f32 v[32:33], v[50:51], v[32:33]
	v_pk_add_f32 v[52:53], v[68:69], v[52:53]
	v_pk_fma_f32 v[68:69], v[40:41], s[40:41], v[72:73] op_sel:[1,0,0]
	v_fmac_f32_e32 v33, 0xbf0a6770, v63
	v_pk_add_f32 v[52:53], v[68:69], v[52:53]
	v_pk_fma_f32 v[68:69], v[44:45], s[38:39], v[74:75] op_sel:[1,0,0]
	v_add_f32_e32 v16, v33, v4
	v_pk_add_f32 v[52:53], v[68:69], v[52:53]
	v_pk_fma_f32 v[32:33], v[46:47], s[42:43], v[76:77] op_sel:[1,0,0]
	v_add_f32_e32 v1, v37, v36
	;; [unrolled: 3-line block ×3, first 2 shown]
	v_add_f32_e32 v1, v1, v16
	ds_write2_b32 v8, v33, v32 offset0:6 offset1:7
	v_pk_fma_f32 v[32:33], v[30:31], s[20:21], v[56:57] op_sel:[1,0,0]
	v_pk_add_f32 v[38:39], v[38:39], v[4:5] op_sel_hi:[1,0]
	v_add_f32_e32 v12, v55, v54
	v_add_f32_e32 v1, v10, v1
	v_pk_fma_f32 v[36:37], v[40:41], s[34:35], v[60:61] op_sel:[1,0,0]
	v_pk_add_f32 v[32:33], v[32:33], v[38:39]
	v_add_f32_e32 v14, v59, v58
	v_add_f32_e32 v1, v12, v1
	v_pk_fma_f32 v[48:49], v[44:45], s[28:29], v[64:65] op_sel:[1,0,0]
	v_pk_add_f32 v[32:33], v[36:37], v[32:33]
	s_movk_i32 s33, 0xffd8
	v_add_f32_e32 v54, v14, v1
	v_pk_fma_f32 v[52:53], v[46:47], s[36:37], v[66:67] op_sel:[1,0,0]
	v_pk_add_f32 v[32:33], v[48:49], v[32:33]
	v_mad_i32_i24 v1, v0, s33, v8
	v_pk_add_f32 v[32:33], v[52:53], v[32:33]
	v_add_u32_e32 v10, 0x980, v1
	v_add_u32_e32 v14, 0x134, v0
	ds_write2_b32 v8, v33, v32 offset0:8 offset1:9
	ds_write_b32 v8, v54 offset:40
	s_waitcnt lgkmcnt(0)
	s_barrier
	ds_read2_b32 v[48:49], v1 offset1:154
	ds_read2_b32 v[38:39], v10 offset0:8 offset1:239
	v_add_u32_e32 v10, 0xf00, v1
	v_add_u32_e32 v18, 0x1ce, v0
	v_lshl_add_u32 v52, v14, 2, 0
	v_add_u32_e32 v1, 0x1400, v1
	ds_read2_b32 v[32:33], v10 offset0:41 offset1:195
	v_lshl_add_u32 v53, v18, 2, 0
	ds_read_b32 v56, v52
	ds_read_b32 v57, v53
	ds_read2_b32 v[36:37], v1 offset0:29 offset1:183
	v_mul_i32_i24_e32 v1, 0xffffffd8, v0
	s_movk_i32 s33, 0x4d
	v_cmp_gt_u32_e32 vcc, s33, v0
	v_add_u32_e32 v1, v8, v1
                                        ; implicit-def: $vgpr55
	s_and_saveexec_b64 s[44:45], vcc
	s_cbranch_execz .LBB0_13
; %bb.12:
	ds_read_b32 v54, v1 offset:3080
	ds_read_b32 v55, v1 offset:6468
.LBB0_13:
	s_or_b64 exec, exec, s[44:45]
	v_add_f32_e32 v10, v25, v5
	v_mov_b32_e32 v60, v27
	v_mov_b32_e32 v61, v30
	v_add_f32_e32 v16, v23, v10
	v_mov_b32_e32 v10, v17
	v_pk_mul_f32 v[62:63], v[60:61], s[8:9]
	v_pk_add_f32 v[22:23], v[10:11], v[6:7] neg_lo:[0,1] neg_hi:[0,1]
	v_mov_b32_e32 v17, v62
	v_sub_f32_e32 v6, v62, v63
	v_mov_b32_e32 v62, v29
	v_mov_b32_e32 v63, v40
	v_pk_mul_f32 v[64:65], v[62:63], s[10:11]
	v_pk_fma_f32 v[60:61], v[60:61], s[8:9], v[16:17]
	v_mov_b32_e32 v17, v64
	v_sub_f32_e32 v12, v64, v65
	v_mov_b32_e32 v64, v35
	v_mov_b32_e32 v65, v44
	v_pk_mul_f32 v[66:67], v[64:65], s[12:13]
	v_pk_fma_f32 v[62:63], v[62:63], s[10:11], v[16:17]
	v_mov_b32_e32 v17, v66
	v_pk_fma_f32 v[64:65], v[64:65], s[12:13], v[16:17]
	v_mov_b32_e32 v17, v7
	v_pk_add_f32 v[16:17], v[24:25], v[16:17]
	v_mov_b32_e32 v50, v15
	v_pk_add_f32 v[24:25], v[50:51], v[16:17]
	v_pk_mul_f32 v[50:51], v[50:51], v[16:17]
	v_mov_b32_e32 v58, v9
	v_mov_b32_e32 v25, v51
	v_fmac_f32_e32 v51, 0x3f0a6770, v22
	v_add_f32_e32 v9, v51, v5
	v_mul_f32_e32 v59, 0xbf0a6770, v22
	v_add_f32_e32 v6, v6, v9
	v_pk_add_f32 v[24:25], v[58:59], v[24:25]
	v_mov_b32_e32 v10, v11
	v_mov_b32_e32 v11, v5
	v_mov_b32_e32 v60, v13
	v_add_f32_e32 v6, v12, v6
	v_mov_b32_e32 v12, v43
	v_mov_b32_e32 v13, v46
	v_pk_add_f32 v[10:11], v[10:11], v[24:25]
	v_mov_b32_e32 v64, v21
	v_sub_f32_e32 v9, v66, v67
	v_pk_mul_f32 v[20:21], v[12:13], s[2:3]
	v_pk_add_f32 v[10:11], v[60:61], v[10:11]
	v_mov_b32_e32 v62, v19
	v_add_f32_e32 v15, v9, v6
	v_mov_b32_e32 v9, v20
	v_pk_add_f32 v[10:11], v[62:63], v[10:11]
	v_pk_fma_f32 v[12:13], v[12:13], s[2:3], v[8:9]
	v_pk_add_f32 v[10:11], v[64:65], v[10:11]
	v_mov_b32_e32 v12, v7
	v_pk_add_f32 v[6:7], v[12:13], v[10:11]
	v_pk_mul_f32 v[10:11], v[22:23], s[18:19] op_sel_hi:[0,1]
	v_pk_mul_f32 v[12:13], v[30:31], s[20:21] op_sel_hi:[0,1]
	v_pk_fma_f32 v[60:61], v[16:17], s[14:15], v[10:11] op_sel:[1,0,0]
	v_sub_f32_e32 v9, v20, v21
	v_pk_fma_f32 v[20:21], v[26:27], s[6:7], v[12:13] op_sel:[1,0,0]
	v_pk_mul_f32 v[24:25], v[40:41], s[34:35] op_sel_hi:[0,1]
	v_pk_add_f32 v[60:61], v[60:61], v[4:5] op_sel:[0,1]
	v_pk_fma_f32 v[58:59], v[28:29], s[16:17], v[24:25] op_sel:[1,0,0]
	v_pk_add_f32 v[20:21], v[20:21], v[60:61]
	v_pk_fma_f32 v[10:11], v[16:17], s[14:15], v[10:11] op_sel:[1,0,0] neg_lo:[0,0,1] neg_hi:[0,0,1]
	v_pk_add_f32 v[20:21], v[58:59], v[20:21]
	v_pk_mul_f32 v[58:59], v[44:45], s[28:29] op_sel_hi:[0,1]
	v_pk_fma_f32 v[12:13], v[26:27], s[6:7], v[12:13] op_sel:[1,0,0] neg_lo:[0,0,1] neg_hi:[0,0,1]
	v_pk_add_f32 v[10:11], v[10:11], v[4:5] op_sel:[0,1]
	v_pk_fma_f32 v[60:61], v[34:35], s[22:23], v[58:59] op_sel:[1,0,0]
	v_pk_fma_f32 v[24:25], v[28:29], s[16:17], v[24:25] op_sel:[1,0,0] neg_lo:[0,0,1] neg_hi:[0,0,1]
	v_pk_add_f32 v[10:11], v[12:13], v[10:11]
	v_pk_add_f32 v[20:21], v[60:61], v[20:21]
	v_pk_mul_f32 v[60:61], v[46:47], s[36:37] op_sel_hi:[0,1]
	v_pk_add_f32 v[10:11], v[24:25], v[10:11]
	v_pk_fma_f32 v[12:13], v[34:35], s[22:23], v[58:59] op_sel:[1,0,0] neg_lo:[0,0,1] neg_hi:[0,0,1]
	v_pk_fma_f32 v[62:63], v[42:43], s[24:25], v[60:61] op_sel:[1,0,0]
	v_pk_add_f32 v[10:11], v[12:13], v[10:11]
	v_pk_fma_f32 v[12:13], v[42:43], s[24:25], v[60:61] op_sel:[1,0,0] neg_lo:[0,0,1] neg_hi:[0,0,1]
	v_add_f32_e32 v50, v9, v15
	v_pk_add_f32 v[10:11], v[12:13], v[10:11]
	v_pk_mul_f32 v[12:13], v[22:23], s[26:27] op_sel_hi:[0,1]
	v_pk_mul_f32 v[22:23], v[30:31], s[30:31] op_sel_hi:[0,1]
	v_pk_fma_f32 v[58:59], v[16:17], s[6:7], v[12:13] op_sel:[1,0,0]
	v_pk_fma_f32 v[24:25], v[26:27], s[22:23], v[22:23] op_sel:[1,0,0]
	v_pk_mul_f32 v[30:31], v[40:41], s[40:41] op_sel_hi:[0,1]
	v_pk_add_f32 v[58:59], v[58:59], v[4:5] op_sel:[0,1]
	v_pk_fma_f32 v[40:41], v[28:29], s[24:25], v[30:31] op_sel:[1,0,0]
	v_pk_add_f32 v[24:25], v[24:25], v[58:59]
	v_pk_fma_f32 v[12:13], v[16:17], s[6:7], v[12:13] op_sel:[1,0,0] neg_lo:[0,0,1] neg_hi:[0,0,1]
	v_pk_add_f32 v[24:25], v[40:41], v[24:25]
	v_pk_mul_f32 v[40:41], v[44:45], s[38:39] op_sel_hi:[0,1]
	v_pk_fma_f32 v[22:23], v[26:27], s[22:23], v[22:23] op_sel:[1,0,0] neg_lo:[0,0,1] neg_hi:[0,0,1]
	v_pk_add_f32 v[4:5], v[12:13], v[4:5] op_sel:[0,1]
	v_pk_fma_f32 v[44:45], v[34:35], s[16:17], v[40:41] op_sel:[1,0,0]
	v_pk_fma_f32 v[26:27], v[28:29], s[24:25], v[30:31] op_sel:[1,0,0] neg_lo:[0,0,1] neg_hi:[0,0,1]
	v_pk_add_f32 v[4:5], v[22:23], v[4:5]
	v_pk_add_f32 v[24:25], v[44:45], v[24:25]
	v_pk_mul_f32 v[44:45], v[46:47], s[42:43] op_sel_hi:[0,1]
	v_pk_add_f32 v[4:5], v[26:27], v[4:5]
	v_pk_fma_f32 v[12:13], v[34:35], s[16:17], v[40:41] op_sel:[1,0,0] neg_lo:[0,0,1] neg_hi:[0,0,1]
	v_pk_fma_f32 v[46:47], v[42:43], s[14:15], v[44:45] op_sel:[1,0,0]
	v_pk_add_f32 v[4:5], v[12:13], v[4:5]
	v_pk_fma_f32 v[12:13], v[42:43], s[14:15], v[44:45] op_sel:[1,0,0] neg_lo:[0,0,1] neg_hi:[0,0,1]
	v_pk_add_f32 v[20:21], v[62:63], v[20:21]
	v_pk_add_f32 v[4:5], v[12:13], v[4:5]
	;; [unrolled: 1-line block ×3, first 2 shown]
	s_waitcnt lgkmcnt(0)
	s_barrier
	ds_write2_b32 v8, v6, v7 offset1:1
	ds_write2_b32 v8, v20, v21 offset0:2 offset1:3
	ds_write2_b32 v8, v24, v25 offset0:4 offset1:5
	ds_write2_b32 v8, v5, v4 offset0:6 offset1:7
	ds_write2_b32 v8, v11, v10 offset0:8 offset1:9
	ds_write_b32 v8, v50 offset:40
	v_add_u32_e32 v4, 0x980, v1
	s_waitcnt lgkmcnt(0)
	s_barrier
	ds_read2_b32 v[6:7], v4 offset0:8 offset1:239
	v_add_u32_e32 v4, 0xf00, v1
	ds_read2_b32 v[8:9], v1 offset1:154
	ds_read2_b32 v[12:13], v4 offset0:41 offset1:195
	ds_read_b32 v26, v52
	ds_read_b32 v4, v53
	v_add_u32_e32 v5, 0x1400, v1
	ds_read2_b32 v[10:11], v5 offset0:29 offset1:183
                                        ; implicit-def: $vgpr27
	s_and_saveexec_b64 s[2:3], vcc
	s_cbranch_execz .LBB0_15
; %bb.14:
	ds_read_b32 v50, v1 offset:3080
	ds_read_b32 v27, v1 offset:6468
.LBB0_15:
	s_or_b64 exec, exec, s[2:3]
	s_movk_i32 s2, 0x75
	v_mul_lo_u16_sdwa v16, v0, s2 dst_sel:DWORD dst_unused:UNUSED_PAD src0_sel:BYTE_0 src1_sel:DWORD
	v_sub_u16_sdwa v17, v0, v16 dst_sel:DWORD dst_unused:UNUSED_PAD src0_sel:DWORD src1_sel:BYTE_1
	v_lshrrev_b16_e32 v17, 1, v17
	v_and_b32_e32 v17, 0x7f, v17
	v_add_u16_sdwa v16, v17, v16 dst_sel:DWORD dst_unused:UNUSED_PAD src0_sel:DWORD src1_sel:BYTE_1
	v_lshrrev_b16_e32 v31, 3, v16
	v_mul_lo_u16_e32 v16, 11, v31
	v_add_u32_e32 v42, 0x9a, v0
	v_sub_u16_e32 v34, v0, v16
	v_mov_b32_e32 v16, 3
	s_mov_b32 s2, 0xba2f
	v_lshlrev_b32_sdwa v28, v16, v34 dst_sel:DWORD dst_unused:UNUSED_PAD src0_sel:DWORD src1_sel:BYTE_0
	v_mul_u32_u24_sdwa v16, v42, s2 dst_sel:DWORD dst_unused:UNUSED_PAD src0_sel:WORD_0 src1_sel:DWORD
	v_lshrrev_b32_e32 v29, 19, v16
	v_mul_lo_u16_e32 v16, 11, v29
	v_sub_u16_e32 v30, v42, v16
	v_mul_u32_u24_sdwa v16, v14, s2 dst_sel:DWORD dst_unused:UNUSED_PAD src0_sel:WORD_0 src1_sel:DWORD
	v_lshrrev_b32_e32 v40, 19, v16
	v_add_u32_e32 v5, 0x268, v0
	v_mul_lo_u16_e32 v16, 11, v40
	v_sub_u16_e32 v41, v14, v16
	v_mul_u32_u24_sdwa v14, v5, s2 dst_sel:DWORD dst_unused:UNUSED_PAD src0_sel:WORD_0 src1_sel:DWORD
	v_lshrrev_b32_e32 v44, 19, v14
	v_add_u32_e32 v15, 0x302, v0
	v_mul_lo_u16_e32 v14, 11, v44
	v_sub_u16_e32 v5, v5, v14
	v_mul_u32_u24_sdwa v14, v15, s2 dst_sel:DWORD dst_unused:UNUSED_PAD src0_sel:WORD_0 src1_sel:DWORD
	v_lshrrev_b32_e32 v45, 19, v14
	v_mul_lo_u16_e32 v14, 11, v45
	v_lshlrev_b32_e32 v19, 3, v5
	v_sub_u16_e32 v46, v15, v14
	v_lshlrev_b32_e32 v20, 3, v46
	global_load_dwordx2 v[16:17], v19, s[4:5]
	global_load_dwordx2 v[14:15], v20, s[4:5]
	v_mul_u32_u24_sdwa v19, v18, s2 dst_sel:DWORD dst_unused:UNUSED_PAD src0_sel:WORD_0 src1_sel:DWORD
	v_lshrrev_b32_e32 v47, 19, v19
	v_mul_lo_u16_e32 v19, 11, v47
	v_sub_u16_e32 v51, v18, v19
	v_lshlrev_b32_e32 v35, 3, v30
	v_lshlrev_b32_e32 v43, 3, v41
	;; [unrolled: 1-line block ×3, first 2 shown]
	global_load_dwordx2 v[24:25], v28, s[4:5]
	global_load_dwordx2 v[22:23], v35, s[4:5]
	;; [unrolled: 1-line block ×4, first 2 shown]
	v_mov_b32_e32 v35, 2
	s_mov_b32 s3, 0x5040100
	v_mul_u32_u24_e32 v28, 0x58, v29
	v_perm_b32 v29, v47, v40, s3
	v_lshlrev_b32_e32 v47, 2, v51
	v_lshlrev_b32_e32 v51, 2, v5
	v_mul_u32_u24_e32 v5, 0x58, v31
	v_lshlrev_b32_sdwa v31, v35, v34 dst_sel:DWORD dst_unused:UNUSED_PAD src0_sel:DWORD src1_sel:BYTE_0
	v_add3_u32 v31, 0, v5, v31
	s_movk_i32 s2, 0x58
	v_pk_mul_lo_u16 v29, v29, s2 op_sel_hi:[1,0]
	v_mul_u32_u24_e32 v40, 0x58, v44
	v_lshlrev_b32_e32 v30, 2, v30
	v_and_b32_e32 v43, 0xfff8, v29
	v_lshlrev_b32_e32 v41, 2, v41
	v_lshrrev_b32_e32 v44, 16, v29
	v_add3_u32 v28, 0, v28, v30
	v_add3_u32 v29, 0, v43, v41
	;; [unrolled: 1-line block ×3, first 2 shown]
	s_waitcnt lgkmcnt(0)
	s_barrier
	s_waitcnt vmcnt(5)
	v_mul_f32_e32 v5, v11, v17
	s_waitcnt vmcnt(4)
	v_mul_f32_e32 v34, v27, v15
	v_fma_f32 v5, v37, v16, -v5
	v_fma_f32 v34, v55, v14, -v34
	v_sub_f32_e32 v35, v38, v5
	v_sub_f32_e32 v5, v54, v34
	v_fma_f32 v34, v38, 2.0, -v35
	s_waitcnt vmcnt(3)
	v_mul_f32_e32 v38, v7, v25
	s_waitcnt vmcnt(2)
	v_mul_f32_e32 v41, v12, v23
	;; [unrolled: 2-line block ×4, first 2 shown]
	v_fma_f32 v38, v39, v24, -v38
	v_fma_f32 v41, v32, v22, -v41
	;; [unrolled: 1-line block ×4, first 2 shown]
	v_sub_f32_e32 v38, v48, v38
	v_sub_f32_e32 v41, v49, v41
	;; [unrolled: 1-line block ×4, first 2 shown]
	v_fma_f32 v47, v48, 2.0, -v38
	v_fma_f32 v48, v49, 2.0, -v41
	;; [unrolled: 1-line block ×4, first 2 shown]
	ds_write2_b32 v31, v47, v38 offset1:11
	ds_write2_b32 v28, v48, v41 offset1:11
	;; [unrolled: 1-line block ×4, first 2 shown]
	v_add3_u32 v38, 0, v40, v51
	ds_write2_b32 v38, v34, v35 offset1:11
	v_mul_lo_u16_e32 v34, 22, v45
	v_lshlrev_b32_e32 v35, 2, v46
	s_and_saveexec_b64 s[2:3], vcc
	s_cbranch_execz .LBB0_17
; %bb.16:
	v_lshlrev_b32_e32 v41, 2, v34
	v_fma_f32 v40, v54, 2.0, -v5
	v_add3_u32 v41, 0, v35, v41
	ds_write2_b32 v41, v40, v5 offset1:11
.LBB0_17:
	s_or_b64 exec, exec, s[2:3]
	v_mul_f32_e32 v25, v39, v25
	v_fmac_f32_e32 v25, v7, v24
	v_mul_f32_e32 v7, v32, v23
	v_fmac_f32_e32 v7, v12, v22
	;; [unrolled: 2-line block ×5, first 2 shown]
	v_sub_f32_e32 v24, v26, v12
	v_mul_f32_e32 v11, v55, v15
	v_sub_f32_e32 v20, v8, v25
	v_sub_f32_e32 v22, v9, v7
	v_fma_f32 v25, v26, 2.0, -v24
	v_sub_f32_e32 v26, v4, v13
	v_sub_f32_e32 v32, v6, v10
	v_fmac_f32_e32 v11, v27, v14
	v_fma_f32 v21, v8, 2.0, -v20
	v_fma_f32 v23, v9, 2.0, -v22
	;; [unrolled: 1-line block ×4, first 2 shown]
	s_waitcnt lgkmcnt(0)
	s_barrier
	ds_read2_b32 v[8:9], v1 offset1:154
	ds_read_b32 v15, v52
	ds_read_b32 v14, v53
	v_lshl_add_u32 v6, v0, 2, 0
	ds_read_b32 v4, v1 offset:6160
	ds_read_b32 v13, v1 offset:2464
	;; [unrolled: 1-line block ×3, first 2 shown]
	v_add_u32_e32 v18, 0xe00, v1
	v_add_u32_e32 v19, 0x1200, v1
	v_sub_f32_e32 v7, v50, v11
	ds_read2_b32 v[10:11], v18 offset0:28 offset1:182
	ds_read2_b32 v[16:17], v19 offset0:80 offset1:234
	s_waitcnt lgkmcnt(0)
	s_barrier
	ds_write2_b32 v31, v21, v20 offset1:11
	ds_write2_b32 v28, v23, v22 offset1:11
	;; [unrolled: 1-line block ×5, first 2 shown]
	s_and_saveexec_b64 s[2:3], vcc
	s_cbranch_execz .LBB0_19
; %bb.18:
	v_lshlrev_b32_e32 v21, 2, v34
	v_fma_f32 v20, v50, 2.0, -v7
	v_add3_u32 v21, 0, v35, v21
	ds_write2_b32 v21, v20, v7 offset1:11
.LBB0_19:
	s_or_b64 exec, exec, s[2:3]
	v_lshrrev_b16_e32 v20, 1, v0
	v_and_b32_e32 v20, 0x7f, v20
	v_mul_lo_u16_e32 v20, 0xbb, v20
	v_lshrrev_b16_e32 v45, 11, v20
	v_mul_lo_u16_e32 v20, 22, v45
	v_sub_u16_e32 v61, v0, v20
	v_mov_b32_e32 v20, 10
	v_mul_u32_u24_sdwa v20, v61, v20 dst_sel:DWORD dst_unused:UNUSED_PAD src0_sel:BYTE_0 src1_sel:DWORD
	v_lshlrev_b32_e32 v20, 3, v20
	s_waitcnt lgkmcnt(0)
	s_barrier
	global_load_dwordx4 v[22:25], v20, s[4:5] offset:120
	global_load_dwordx3 v[46:48], v20, s[4:5] offset:136
	global_load_dwordx4 v[26:29], v20, s[4:5] offset:88
	global_load_dword v32, v20, s[4:5] offset:164
	global_load_dwordx4 v[34:37], v20, s[4:5] offset:104
	global_load_dwordx4 v[38:41], v20, s[4:5] offset:148
	ds_read2_b32 v[20:21], v1 offset1:154
	ds_read_b32 v31, v52
	ds_read_b32 v30, v53
	ds_read_b32 v50, v6 offset:3080
	ds_read2_b32 v[52:53], v18 offset0:28 offset1:182
	ds_read2_b32 v[18:19], v19 offset0:80 offset1:234
	ds_read_b32 v51, v1 offset:2464
	ds_read_b32 v60, v1 offset:6160
	s_mov_b32 s6, 0xbe11bafb
	v_mov_b32_e32 v54, v16
	s_waitcnt lgkmcnt(2)
	v_mov_b32_e32 v55, v19
	s_mov_b32 s7, 0x3ed4b147
	s_mov_b32 s10, 0xbf75a155
	;; [unrolled: 1-line block ×19, first 2 shown]
	s_waitcnt lgkmcnt(0)
	s_barrier
	s_waitcnt vmcnt(5)
	v_mov_b32_e32 v56, v25
	s_waitcnt vmcnt(4)
	v_mov_b32_e32 v57, v46
	s_waitcnt vmcnt(3)
	v_mul_f32_e32 v44, v21, v27
	v_mul_f32_e32 v43, v9, v27
	s_waitcnt vmcnt(2)
	v_mul_f32_e32 v27, v60, v32
	v_mul_f32_e32 v6, v4, v32
	v_mov_b32_e32 v33, v28
	s_waitcnt vmcnt(1)
	v_mov_b32_e32 v28, v35
	s_waitcnt vmcnt(0)
	v_mov_b32_e32 v58, v38
	v_mov_b32_e32 v59, v40
	;; [unrolled: 1-line block ×4, first 2 shown]
	v_fma_f32 v44, v9, v26, -v44
	v_fmac_f32_e32 v43, v21, v26
	v_fma_f32 v21, v4, v41, -v27
	v_fmac_f32_e32 v6, v60, v41
	v_pk_mul_f32 v[26:27], v[30:31], v[28:29]
	v_pk_mul_f32 v[58:59], v[18:19], v[58:59]
	v_mov_b32_e32 v19, v17
	v_pk_mul_f32 v[40:41], v[14:15], v[28:29]
	v_sub_f32_e32 v62, v43, v6
	v_pk_fma_f32 v[28:29], v[14:15], v[32:33], v[26:27] neg_lo:[0,0,1] neg_hi:[0,0,1]
	v_pk_mul_f32 v[14:15], v[18:19], v[48:49]
	v_mov_b32_e32 v34, v48
	v_mov_b32_e32 v35, v39
	v_add_f32_e32 v60, v44, v21
	v_pk_fma_f32 v[30:31], v[30:31], v[32:33], v[40:41]
	v_mul_f32_e32 v18, 0xbf68dda4, v62
	v_mul_f32_e32 v19, 0xbe903f40, v62
	v_pk_fma_f32 v[26:27], v[54:55], v[38:39], v[14:15]
	v_pk_fma_f32 v[32:33], v[16:17], v[34:35], v[58:59] neg_lo:[0,0,1] neg_hi:[0,0,1]
	v_mul_f32_e32 v9, 0xbf0a6770, v62
	v_fma_f32 v35, v60, s7, -v18
	v_fmac_f32_e32 v18, 0x3ed4b147, v60
	v_fma_f32 v38, v60, s10, -v19
	v_fmac_f32_e32 v19, 0xbf75a155, v60
	v_pk_add_f32 v[16:17], v[30:31], v[26:27] neg_lo:[0,1] neg_hi:[0,1]
	v_pk_add_f32 v[14:15], v[28:29], v[32:33]
	v_fma_f32 v34, v60, s8, -v9
	v_add_f32_e32 v40, v8, v18
	v_add_f32_e32 v41, v8, v19
	v_pk_mul_f32 v[18:19], v[16:17], s[16:17]
	v_add_f32_e32 v46, v8, v34
	v_add_f32_e32 v39, v8, v35
	v_pk_fma_f32 v[34:35], v[14:15], s[10:11], v[18:19] neg_lo:[0,0,1] neg_hi:[0,0,1]
	v_pk_fma_f32 v[18:19], v[14:15], s[10:11], v[18:19]
	v_add_f32_e32 v35, v35, v39
	v_add_f32_e32 v19, v19, v40
	v_mul_f32_e32 v39, 0x3f0a6770, v17
	v_add_f32_e32 v38, v8, v38
	v_fma_f32 v40, v15, s8, -v39
	v_add_f32_e32 v58, v18, v19
	v_mul_f32_e32 v18, 0xbf4178ce, v16
	v_add_f32_e32 v48, v40, v38
	v_fmac_f32_e32 v39, 0x3f575c64, v15
	v_fma_f32 v19, v14, s11, -v18
	v_add_f32_e32 v49, v39, v41
	v_pk_mul_f32 v[38:39], v[16:17], s[14:15]
	v_add_f32_e32 v48, v19, v48
	v_fmac_f32_e32 v18, 0xbf27a4f4, v14
	v_mov_b32_e32 v19, v36
	v_mov_b32_e32 v36, v23
	v_add_f32_e32 v4, v8, v44
	v_fmac_f32_e32 v9, 0x3f575c64, v60
	v_pk_fma_f32 v[40:41], v[14:15], s[6:7], v[38:39] neg_lo:[0,0,1] neg_hi:[0,0,1]
	v_add_f32_e32 v49, v18, v49
	v_mov_b32_e32 v18, v22
	v_pk_mul_f32 v[22:23], v[50:51], v[36:37]
	v_add_f32_e32 v4, v4, v29
	v_add_f32_e32 v9, v8, v9
	;; [unrolled: 1-line block ×3, first 2 shown]
	v_pk_fma_f32 v[38:39], v[14:15], s[6:7], v[38:39]
	v_add_f32_e32 v55, v34, v35
	v_pk_fma_f32 v[34:35], v[12:13], v[18:19], v[22:23] neg_lo:[0,0,1] neg_hi:[0,0,1]
	v_pk_mul_f32 v[12:13], v[12:13], v[36:37]
	v_mov_b32_e32 v46, v25
	v_add_f32_e32 v4, v4, v28
	v_add_f32_e32 v9, v39, v9
	v_pk_fma_f32 v[36:37], v[50:51], v[18:19], v[12:13]
	v_mov_b32_e32 v12, v24
	v_mov_b32_e32 v13, v57
	v_pk_mul_f32 v[18:19], v[52:53], v[46:47]
	v_add_f32_e32 v9, v38, v9
	v_pk_fma_f32 v[38:39], v[10:11], v[12:13], v[18:19] neg_lo:[0,0,1] neg_hi:[0,0,1]
	v_mov_b32_e32 v13, v53
	v_mov_b32_e32 v53, v11
	;; [unrolled: 1-line block ×3, first 2 shown]
	v_add_f32_e32 v4, v4, v35
	v_mov_b32_e32 v12, v10
	v_pk_mul_f32 v[10:11], v[52:53], v[24:25]
	v_add_f32_e32 v4, v4, v34
	v_add_f32_e32 v54, v40, v41
	v_pk_fma_f32 v[40:41], v[12:13], v[56:57], v[10:11]
	v_add_f32_e32 v4, v4, v38
	v_add_f32_e32 v4, v4, v39
	v_pk_add_f32 v[18:19], v[36:37], v[40:41] neg_lo:[0,1] neg_hi:[0,1]
	v_add_f32_e32 v4, v4, v32
	v_pk_add_f32 v[12:13], v[34:35], v[38:39]
	v_pk_mul_f32 v[10:11], v[18:19], s[18:19]
	v_add_f32_e32 v4, v4, v33
	v_pk_fma_f32 v[22:23], v[12:13], s[8:9], v[10:11] neg_lo:[0,0,1] neg_hi:[0,0,1]
	v_add_f32_e32 v50, v4, v21
	v_add_f32_e32 v4, v23, v55
	v_mul_f32_e32 v23, 0x3f68dda4, v19
	v_fma_f32 v24, v13, s7, -v23
	v_pk_fma_f32 v[10:11], v[12:13], s[8:9], v[10:11]
	v_add_f32_e32 v48, v24, v48
	v_pk_mul_f32 v[24:25], v[18:19], s[12:13]
	v_add_f32_e32 v11, v11, v58
	v_fmac_f32_e32 v23, 0x3ed4b147, v13
	v_pk_fma_f32 v[46:47], v[12:13], s[10:11], v[24:25] neg_lo:[0,0,1] neg_hi:[0,0,1]
	v_add_f32_e32 v49, v23, v49
	v_add_f32_e32 v23, v47, v54
	v_pk_fma_f32 v[24:25], v[12:13], s[10:11], v[24:25]
	v_add_f32_e32 v47, v22, v4
	v_add_f32_e32 v4, v10, v11
	v_pk_mul_f32 v[10:11], v[62:63], s[22:23] op_sel_hi:[0,1]
	v_add_f32_e32 v9, v25, v9
	v_add_f32_e32 v46, v46, v23
	v_pk_fma_f32 v[22:23], v[60:61], s[20:21], v[10:11] op_sel_hi:[0,1,1] neg_lo:[0,0,1] neg_hi:[0,0,1]
	s_mov_b32 s18, s19
	s_mov_b32 s19, s16
	v_add_f32_e32 v9, v24, v9
	v_add_f32_e32 v51, v8, v23
	;; [unrolled: 1-line block ×3, first 2 shown]
	v_pk_fma_f32 v[10:11], v[60:61], s[20:21], v[10:11] op_sel_hi:[0,1,1]
	s_mov_b32 s14, s6
	s_mov_b32 s15, s10
	v_pk_mul_f32 v[22:23], v[16:17], s[18:19] op_sel:[1,0]
	v_pk_add_f32 v[10:11], v[8:9], v[10:11] op_sel_hi:[0,1]
	v_pk_fma_f32 v[24:25], v[14:15], s[14:15], v[22:23] op_sel:[1,0,0] neg_lo:[0,0,1] neg_hi:[0,0,1]
	v_pk_fma_f32 v[22:23], v[14:15], s[14:15], v[22:23] op_sel:[1,0,0]
	s_mov_b32 s9, s7
	v_pk_mul_f32 v[16:17], v[16:17], s[2:3] op_sel_hi:[0,1]
	v_pk_add_f32 v[10:11], v[22:23], v[10:11]
	v_pk_fma_f32 v[22:23], v[14:15], s[8:9], v[16:17] op_sel_hi:[0,1,1] neg_lo:[0,0,1] neg_hi:[0,0,1]
	v_pk_fma_f32 v[14:15], v[14:15], s[8:9], v[16:17] op_sel_hi:[0,1,1]
	s_mov_b32 s13, s2
	v_pk_add_f32 v[10:11], v[14:15], v[10:11]
	s_mov_b32 s14, s10
	s_mov_b32 s15, s8
	v_pk_mul_f32 v[14:15], v[18:19], s[12:13] op_sel:[1,0]
	v_add_f32_e32 v8, v25, v51
	v_add_f32_e32 v24, v24, v52
	v_pk_fma_f32 v[16:17], v[12:13], s[14:15], v[14:15] op_sel:[1,0,0] neg_lo:[0,0,1] neg_hi:[0,0,1]
	v_pk_fma_f32 v[14:15], v[12:13], s[14:15], v[14:15] op_sel:[1,0,0]
	s_mov_b32 s16, s3
	v_add_f32_e32 v8, v23, v8
	v_add_f32_e32 v22, v22, v24
	v_pk_add_f32 v[10:11], v[14:15], v[10:11]
	s_mov_b32 s10, s7
	v_pk_mul_f32 v[14:15], v[18:19], s[16:17] op_sel_hi:[0,1]
	v_add_f32_e32 v8, v17, v8
	v_add_f32_e32 v22, v16, v22
	v_pk_fma_f32 v[16:17], v[12:13], s[10:11], v[14:15] op_sel_hi:[0,1,1] neg_lo:[0,0,1] neg_hi:[0,0,1]
	v_pk_fma_f32 v[14:15], v[12:13], s[10:11], v[14:15] op_sel_hi:[0,1,1]
	v_mul_f32_e32 v13, 0xbf7d64f0, v18
	v_pk_add_f32 v[10:11], v[14:15], v[10:11]
	v_fma_f32 v14, v12, s6, -v13
	v_fmac_f32_e32 v13, 0xbe11bafb, v12
	v_mov_b32_e32 v15, 2
	v_add_f32_e32 v12, v13, v49
	v_mul_u32_u24_e32 v13, 0x3c8, v45
	v_lshlrev_b32_sdwa v15, v15, v61 dst_sel:DWORD dst_unused:UNUSED_PAD src0_sel:DWORD src1_sel:BYTE_0
	v_add_f32_e32 v8, v17, v8
	v_add3_u32 v45, 0, v13, v15
	v_add_f32_e32 v16, v16, v22
	v_add_f32_e32 v14, v14, v48
	ds_write2_b32 v45, v50, v46 offset1:22
	ds_write2_b32 v45, v47, v8 offset0:44 offset1:66
	ds_write2_b32 v45, v16, v14 offset0:88 offset1:110
	;; [unrolled: 1-line block ×4, first 2 shown]
	ds_write_b32 v45, v9 offset:880
	v_add_u32_e32 v8, 0x780, v1
	s_waitcnt lgkmcnt(0)
	s_barrier
	ds_read2_b32 v[22:23], v8 offset0:4 offset1:246
	v_add_u32_e32 v8, 0xf00, v1
	ds_read2_b32 v[18:19], v1 offset1:242
	ds_read2_b32 v[24:25], v8 offset0:8 offset1:250
	ds_read_b32 v17, v1 offset:5808
	s_movk_i32 s2, 0x58
	s_movk_i32 s6, 0x57
	v_cmp_gt_u32_e64 s[2:3], s2, v0
	v_cmp_lt_u32_e32 vcc, s6, v0
                                        ; implicit-def: $vgpr12_vgpr13
	s_and_saveexec_b64 s[6:7], vcc
	s_xor_b64 s[6:7], exec, s[6:7]
; %bb.20:
	v_mov_b64_e32 v[12:13], v[4:5]
; %bb.21:
	s_or_saveexec_b64 s[6:7], s[6:7]
                                        ; implicit-def: $vgpr16
                                        ; implicit-def: $vgpr15
	s_xor_b64 exec, exec, s[6:7]
	s_cbranch_execz .LBB0_23
; %bb.22:
	v_add_u32_e32 v4, 0x9e0, v1
	ds_read2_b32 v[8:9], v4 offset0:6 offset1:248
	v_add_u32_e32 v4, 0x1180, v1
	ds_read2_b32 v[14:15], v4 offset0:2 offset1:244
	;; [unrolled: 2-line block ×3, first 2 shown]
	ds_read_b32 v16, v1 offset:6424
	s_waitcnt lgkmcnt(3)
	v_mov_b32_e32 v12, v8
	v_mov_b32_e32 v4, v8
	s_waitcnt lgkmcnt(2)
	v_mov_b32_e32 v13, v14
	v_mov_b32_e32 v5, v14
.LBB0_23:
	s_or_b64 exec, exec, s[6:7]
	v_add_f32_e32 v46, v20, v43
	v_sub_f32_e32 v14, v44, v21
	v_add_f32_e32 v8, v43, v6
	v_mul_f32_e32 v21, 0xbf0a6770, v14
	s_mov_b32 s8, 0x3f575c64
	v_add_f32_e32 v46, v46, v31
	v_pk_add_f32 v[28:29], v[28:29], v[32:33] neg_lo:[0,1] neg_hi:[0,1]
	s_mov_b32 s9, 0x3ed4b147
	v_fmamk_f32 v43, v8, 0x3f575c64, v21
	v_fma_f32 v21, v8, s8, -v21
	v_add_f32_e32 v46, v46, v30
	v_pk_add_f32 v[30:31], v[30:31], v[26:27]
	v_mul_f32_e32 v32, 0xbf68dda4, v29
	v_add_f32_e32 v21, v20, v21
	v_mul_f32_e32 v44, 0xbf68dda4, v14
	v_fmamk_f32 v33, v31, 0x3ed4b147, v32
	v_fma_f32 v32, v31, s9, -v32
	v_add_f32_e32 v43, v20, v43
	v_fmamk_f32 v47, v8, 0x3ed4b147, v44
	v_fma_f32 v44, v8, s9, -v44
	v_add_f32_e32 v21, v32, v21
	v_mul_f32_e32 v32, 0xbf4178ce, v29
	s_mov_b32 s10, 0xbf27a4f4
	v_add_f32_e32 v44, v20, v44
	v_mul_f32_e32 v48, 0xbe903f40, v14
	s_mov_b32 s15, 0xbf75a155
	v_add_f32_e32 v33, v33, v43
	s_mov_b32 s11, 0xbe11bafb
	v_fmamk_f32 v43, v31, 0xbf27a4f4, v32
	v_fma_f32 v32, v31, s10, -v32
	v_add_f32_e32 v47, v20, v47
	v_fmamk_f32 v49, v8, 0xbf75a155, v48
	v_fma_f32 v48, v8, s15, -v48
	v_add_f32_e32 v32, v32, v44
	v_mul_f32_e32 v44, 0x3f0a6770, v29
	v_add_f32_e32 v48, v20, v48
	v_add_f32_e32 v43, v43, v47
	v_fmamk_f32 v47, v31, 0x3f575c64, v44
	v_fma_f32 v44, v31, s8, -v44
	v_add_f32_e32 v49, v20, v49
	v_add_f32_e32 v44, v44, v48
	v_mul_f32_e32 v48, 0xbf7d64f0, v28
	v_add_f32_e32 v47, v47, v49
	v_fmamk_f32 v49, v30, 0xbe11bafb, v48
	v_add_f32_e32 v49, v49, v33
	v_fma_f32 v33, v30, s11, -v48
	v_add_f32_e32 v21, v33, v21
	v_mul_f32_e32 v33, 0x3e903f40, v28
	v_fmamk_f32 v48, v30, 0xbf75a155, v33
	v_fma_f32 v33, v30, s15, -v33
	v_add_f32_e32 v43, v48, v43
	v_add_f32_e32 v48, v33, v32
	v_mul_f32_e32 v32, 0xbf4178ce, v28
	v_fmamk_f32 v33, v30, 0xbf27a4f4, v32
	v_fma_f32 v32, v30, s10, -v32
	v_add_f32_e32 v44, v32, v44
	v_add_f32_e32 v32, v46, v37
	;; [unrolled: 1-line block ×7, first 2 shown]
	v_pk_add_f32 v[34:35], v[34:35], v[38:39] neg_lo:[0,1] neg_hi:[0,1]
	v_add_f32_e32 v47, v33, v47
	v_add_f32_e32 v46, v26, v6
	v_pk_add_f32 v[32:33], v[36:37], v[40:41]
	v_mul_f32_e32 v6, 0xbf4178ce, v35
	v_fmamk_f32 v26, v33, 0xbf27a4f4, v6
	v_fma_f32 v6, v33, s10, -v6
	v_add_f32_e32 v6, v6, v21
	v_mul_f32_e32 v21, 0x3f7d64f0, v35
	v_fmamk_f32 v27, v33, 0xbe11bafb, v21
	v_fma_f32 v21, v33, s11, -v21
	v_add_f32_e32 v36, v21, v48
	;; [unrolled: 4-line block ×3, first 2 shown]
	v_mul_f32_e32 v21, 0xbe903f40, v34
	v_add_f32_e32 v40, v37, v47
	v_fmamk_f32 v37, v32, 0xbf75a155, v21
	v_fma_f32 v21, v32, s15, -v21
	s_mov_b32 s16, 0xbf4178ce
	v_add_f32_e32 v26, v26, v49
	v_add_f32_e32 v21, v21, v6
	v_mul_f32_e32 v6, 0x3f0a6770, v34
	s_mov_b32 s17, 0xbf7d64f0
	v_add_f32_e32 v27, v27, v43
	v_add_f32_e32 v43, v37, v26
	v_fmamk_f32 v26, v32, 0x3f575c64, v6
	s_mov_b32 s18, 0x3f7d64f0
	v_add_f32_e32 v44, v26, v27
	v_fma_f32 v6, v32, s8, -v6
	v_pk_mul_f32 v[26:27], v[14:15], s[16:17] op_sel_hi:[0,1]
	s_mov_b32 s6, 0xbf0a6770
	s_mov_b32 s19, 0x3e903f40
	v_add_f32_e32 v6, v6, v36
	v_pk_fma_f32 v[36:37], v[8:9], s[10:11], v[26:27] op_sel_hi:[0,1,1]
	s_mov_b32 s7, 0x3f68dda4
	v_add_f32_e32 v14, v20, v37
	v_add_f32_e32 v47, v20, v36
	v_pk_fma_f32 v[26:27], v[8:9], s[10:11], v[26:27] op_sel_hi:[0,1,1] neg_lo:[0,0,1] neg_hi:[0,0,1]
	s_mov_b32 s14, s11
	v_pk_mul_f32 v[36:37], v[28:29], s[18:19] op_sel:[1,0]
	v_pk_add_f32 v[26:27], v[20:21], v[26:27] op_sel_hi:[0,1]
	v_pk_fma_f32 v[38:39], v[30:31], s[14:15], v[36:37] op_sel:[1,0,0]
	v_pk_fma_f32 v[36:37], v[30:31], s[14:15], v[36:37] op_sel:[1,0,0] neg_lo:[0,0,1] neg_hi:[0,0,1]
	v_pk_mul_f32 v[28:29], v[28:29], s[6:7] op_sel_hi:[0,1]
	v_pk_add_f32 v[26:27], v[36:37], v[26:27]
	v_pk_fma_f32 v[36:37], v[30:31], s[8:9], v[28:29] op_sel_hi:[0,1,1]
	v_pk_fma_f32 v[28:29], v[30:31], s[8:9], v[28:29] op_sel_hi:[0,1,1] neg_lo:[0,0,1] neg_hi:[0,0,1]
	s_mov_b32 s13, s6
	v_pk_add_f32 v[26:27], v[28:29], v[26:27]
	s_mov_b32 s14, s15
	s_mov_b32 s15, s8
	v_pk_mul_f32 v[28:29], v[34:35], s[12:13] op_sel:[1,0]
	v_add_f32_e32 v8, v39, v14
	v_add_f32_e32 v14, v38, v47
	v_pk_fma_f32 v[30:31], v[32:33], s[14:15], v[28:29] op_sel:[1,0,0]
	v_pk_fma_f32 v[28:29], v[32:33], s[14:15], v[28:29] op_sel:[1,0,0] neg_lo:[0,0,1] neg_hi:[0,0,1]
	s_mov_b32 s6, s7
	s_mov_b32 s7, s16
	v_add_f32_e32 v8, v37, v8
	v_add_f32_e32 v14, v36, v14
	v_pk_add_f32 v[26:27], v[28:29], v[26:27]
	s_mov_b32 s8, s9
	s_mov_b32 s9, s10
	v_pk_mul_f32 v[28:29], v[34:35], s[6:7] op_sel_hi:[0,1]
	v_add_f32_e32 v8, v31, v8
	v_add_f32_e32 v14, v30, v14
	v_pk_fma_f32 v[30:31], v[32:33], s[8:9], v[28:29] op_sel_hi:[0,1,1]
	v_pk_fma_f32 v[28:29], v[32:33], s[8:9], v[28:29] op_sel_hi:[0,1,1] neg_lo:[0,0,1] neg_hi:[0,0,1]
	v_mul_f32_e32 v20, 0xbf7d64f0, v34
	v_add_f32_e32 v8, v31, v8
	v_pk_add_f32 v[26:27], v[28:29], v[26:27]
	v_fmamk_f32 v28, v32, 0xbe11bafb, v20
	v_fma_f32 v20, v32, s11, -v20
	v_add_f32_e32 v14, v30, v14
	v_add_f32_e32 v28, v28, v40
	;; [unrolled: 1-line block ×3, first 2 shown]
	s_waitcnt lgkmcnt(0)
	s_barrier
	ds_write2_b32 v45, v46, v43 offset1:22
	ds_write2_b32 v45, v44, v8 offset0:44 offset1:66
	ds_write2_b32 v45, v14, v28 offset0:88 offset1:110
	;; [unrolled: 1-line block ×4, first 2 shown]
	ds_write_b32 v45, v21 offset:880
	v_add_u32_e32 v8, 0x780, v1
	s_waitcnt lgkmcnt(0)
	s_barrier
	ds_read2_b32 v[34:35], v8 offset0:4 offset1:246
	v_add_u32_e32 v8, 0xf00, v1
	ds_read2_b32 v[32:33], v1 offset1:242
	ds_read2_b32 v[36:37], v8 offset0:8 offset1:250
	ds_read_b32 v8, v1 offset:5808
                                        ; implicit-def: $vgpr28_vgpr29
	s_and_saveexec_b64 s[6:7], vcc
	s_xor_b64 s[6:7], exec, s[6:7]
; %bb.24:
	v_mov_b64_e32 v[28:29], v[6:7]
                                        ; implicit-def: $vgpr1
; %bb.25:
	s_or_saveexec_b64 s[6:7], s[6:7]
                                        ; implicit-def: $vgpr14
                                        ; implicit-def: $vgpr31
	s_xor_b64 exec, exec, s[6:7]
	s_cbranch_execz .LBB0_27
; %bb.26:
	v_add_u32_e32 v6, 0x9e0, v1
	ds_read2_b32 v[20:21], v6 offset0:6 offset1:248
	v_add_u32_e32 v6, 0x1180, v1
	ds_read2_b32 v[30:31], v6 offset0:2 offset1:244
	;; [unrolled: 2-line block ×3, first 2 shown]
	ds_read_b32 v14, v1 offset:6424
	s_waitcnt lgkmcnt(3)
	v_mov_b32_e32 v28, v20
	v_mov_b32_e32 v6, v20
	s_waitcnt lgkmcnt(2)
	v_mov_b32_e32 v29, v30
	v_mov_b32_e32 v7, v30
	s_or_b64 exec, exec, s[6:7]
	s_and_saveexec_b64 s[6:7], s[0:1]
	s_cbranch_execz .LBB0_30
	s_branch .LBB0_28
.LBB0_27:
	s_or_b64 exec, exec, s[6:7]
	s_and_saveexec_b64 s[6:7], s[0:1]
	s_cbranch_execz .LBB0_30
.LBB0_28:
	v_mul_u32_u24_e32 v1, 6, v0
	v_lshlrev_b32_e32 v1, 3, v1
	global_load_dwordx4 v[38:41], v1, s[4:5] offset:1848
	global_load_dwordx4 v[44:47], v1, s[4:5] offset:1880
	;; [unrolled: 1-line block ×3, first 2 shown]
	s_waitcnt lgkmcnt(1)
	v_mov_b32_e32 v52, v37
	v_mov_b32_e32 v53, v35
	;; [unrolled: 1-line block ×5, first 2 shown]
	s_mov_b32 s6, 0xbf08b237
	s_mov_b32 s7, 0x3eae86e6
	;; [unrolled: 1-line block ×10, first 2 shown]
	v_mov_b32_e32 v1, 0
	v_lshl_add_u64 v[2:3], v[0:1], 3, v[2:3]
	s_mov_b32 s16, 0x3f3bfb3b
	s_mov_b32 s18, 0x3f5ff5aa
	s_waitcnt vmcnt(2)
	v_mul_f32_e32 v58, v19, v39
	s_waitcnt vmcnt(1)
	v_mul_f32_e32 v56, v17, v47
	v_mul_f32_e32 v43, v33, v39
	;; [unrolled: 1-line block ×3, first 2 shown]
	s_waitcnt vmcnt(0)
	v_mul_f32_e32 v37, v35, v48
	v_mul_f32_e32 v61, v23, v49
	v_mov_b32_e32 v66, v44
	v_mov_b32_e32 v67, v49
	;; [unrolled: 1-line block ×6, first 2 shown]
	s_waitcnt lgkmcnt(0)
	v_fmac_f32_e32 v56, v8, v46
	v_fmac_f32_e32 v58, v33, v38
	v_mul_f32_e32 v57, v8, v47
	v_mul_f32_e32 v59, v34, v41
	v_mul_f32_e32 v65, v24, v51
	v_mov_b32_e32 v30, v45
	v_mov_b32_e32 v68, v45
	;; [unrolled: 1-line block ×6, first 2 shown]
	v_fma_f32 v62, v19, v38, -v43
	v_fma_f32 v60, v25, v44, -v60
	v_mov_b32_e32 v19, v32
	v_pk_mul_f32 v[32:33], v[52:53], v[66:67]
	v_pk_mul_f32 v[34:35], v[34:35], v[48:49]
	v_add_f32_e32 v25, v58, v56
	v_mul_f32_e32 v63, v36, v50
	v_fma_f32 v64, v17, v46, -v57
	v_fma_f32 v36, v22, v40, -v59
	v_pk_fma_f32 v[40:41], v[20:21], v[30:31], v[32:33]
	v_pk_fma_f32 v[32:33], v[54:55], v[68:69], v[32:33] neg_lo:[0,0,1] neg_hi:[0,0,1]
	v_pk_fma_f32 v[44:45], v[22:23], v[24:25], v[34:35]
	v_pk_fma_f32 v[22:23], v[22:23], v[70:71], v[34:35] neg_lo:[0,0,1] neg_hi:[0,0,1]
	v_sub_f32_e32 v57, v36, v60
	v_pk_add_f32 v[38:39], v[62:63], v[64:65]
	v_pk_add_f32 v[36:37], v[36:37], v[60:61]
	v_mov_b32_e32 v41, v33
	v_mov_b32_e32 v45, v23
	;; [unrolled: 1-line block ×7, first 2 shown]
	v_pk_add_f32 v[32:33], v[44:45], v[40:41]
	v_pk_add_f32 v[40:41], v[44:45], v[40:41] neg_lo:[0,1] neg_hi:[0,1]
	v_pk_add_f32 v[34:35], v[34:35], v[46:47] neg_lo:[0,1] neg_hi:[0,1]
	v_mov_b32_e32 v59, v41
	v_mov_b32_e32 v24, v23
	v_pk_add_f32 v[44:45], v[40:41], v[56:57]
	v_pk_add_f32 v[50:51], v[34:35], v[40:41]
	v_mov_b32_e32 v23, v32
	v_pk_add_f32 v[52:53], v[58:59], v[56:57] neg_lo:[0,1] neg_hi:[0,1]
	v_pk_add_f32 v[48:49], v[38:39], v[36:37]
	v_mov_b32_e32 v51, v35
	v_pk_add_f32 v[22:23], v[24:25], v[22:23]
	v_mov_b32_e32 v53, v45
	v_mov_b32_e32 v39, v49
	;; [unrolled: 1-line block ×4, first 2 shown]
	v_pk_add_f32 v[44:45], v[48:49], v[22:23]
	v_mov_b32_e32 v23, v32
	v_pk_add_f32 v[48:49], v[50:51], v[52:53]
	v_mov_b32_e32 v53, v41
	v_pk_add_f32 v[50:51], v[38:39], v[22:23] neg_lo:[0,1] neg_hi:[0,1]
	v_mov_b32_e32 v23, v25
	v_pk_add_f32 v[58:59], v[52:53], v[56:57] neg_lo:[0,1] neg_hi:[0,1]
	v_pk_add_f32 v[46:47], v[34:35], v[40:41] neg_lo:[0,1] neg_hi:[0,1]
	v_pk_add_f32 v[18:19], v[18:19], v[44:45]
	v_pk_mul_f32 v[50:51], v[50:51], s[8:9]
	v_pk_mul_f32 v[58:59], v[58:59], s[10:11]
	v_pk_add_f32 v[22:23], v[22:23], v[36:37] neg_lo:[0,1] neg_hi:[0,1]
	v_pk_mul_f32 v[54:55], v[46:47], s[6:7]
	v_pk_mul_f32 v[60:61], v[22:23], s[12:13]
	v_pk_fma_f32 v[22:23], v[22:23], s[12:13], v[50:51]
	v_pk_fma_f32 v[44:45], v[44:45], s[14:15], v[18:19] op_sel_hi:[1,0,1]
	v_pk_fma_f32 v[46:47], v[46:47], s[6:7], v[58:59]
	v_pk_add_f32 v[22:23], v[22:23], v[44:45]
	v_pk_fma_f32 v[46:47], v[48:49], s[0:1], v[46:47] op_sel_hi:[1,0,1]
	global_store_dwordx2 v[2:3], v[18:19], off
	v_pk_add_f32 v[62:63], v[22:23], v[46:47]
	v_pk_add_f32 v[22:23], v[22:23], v[46:47] neg_lo:[0,1] neg_hi:[0,1]
	v_mov_b32_e32 v18, v62
	v_mov_b32_e32 v19, v23
	;; [unrolled: 1-line block ×6, first 2 shown]
	global_store_dwordx2 v[2:3], v[18:19], off offset:1936
	v_pk_add_f32 v[18:19], v[36:37], v[38:39] neg_lo:[0,1] neg_hi:[0,1]
	v_pk_add_f32 v[24:25], v[40:41], v[52:53] neg_lo:[0,1] neg_hi:[0,1]
	v_mov_b32_e32 v32, v50
	v_mov_b32_e32 v33, v61
	;; [unrolled: 1-line block ×4, first 2 shown]
	v_pk_fma_f32 v[32:33], v[18:19], s[16:17], v[32:33] op_sel_hi:[1,0,1] neg_lo:[1,0,1] neg_hi:[1,0,1]
	v_pk_fma_f32 v[34:35], v[24:25], s[18:19], v[34:35] op_sel_hi:[1,0,1] neg_lo:[1,0,1] neg_hi:[1,0,1]
	v_pk_add_f32 v[32:33], v[32:33], v[44:45]
	v_pk_fma_f32 v[34:35], v[48:49], s[0:1], v[34:35] op_sel_hi:[1,0,1]
	v_mov_b32_e32 v55, v59
	v_mov_b32_e32 v61, v51
	v_pk_add_f32 v[36:37], v[32:33], v[34:35]
	v_pk_add_f32 v[32:33], v[32:33], v[34:35] neg_lo:[0,1] neg_hi:[0,1]
	v_pk_fma_f32 v[24:25], v[24:25], s[18:19], v[54:55] op_sel_hi:[1,0,1] neg_lo:[0,0,1] neg_hi:[0,0,1]
	v_pk_fma_f32 v[18:19], v[18:19], s[16:17], v[60:61] op_sel_hi:[1,0,1] neg_lo:[0,0,1] neg_hi:[0,0,1]
	v_mov_b32_e32 v34, v36
	v_mov_b32_e32 v35, v33
	v_pk_fma_f32 v[24:25], v[48:49], s[0:1], v[24:25] op_sel_hi:[1,0,1]
	v_pk_add_f32 v[18:19], v[18:19], v[44:45]
	s_movk_i32 s1, 0x1000
	global_store_dwordx2 v[2:3], v[34:35], off offset:3872
	v_pk_add_f32 v[34:35], v[18:19], v[24:25] neg_lo:[0,1] neg_hi:[0,1]
	v_pk_add_f32 v[24:25], v[18:19], v[24:25]
	v_add_co_u32_e32 v18, vcc, s1, v2
	v_mov_b32_e32 v39, v25
	s_nop 0
	v_addc_co_u32_e32 v19, vcc, 0, v3, vcc
	v_mov_b32_e32 v25, v35
	global_store_dwordx2 v[18:19], v[24:25], off offset:3648
	v_add_co_u32_e32 v24, vcc, 0x2000, v2
	v_mov_b32_e32 v38, v34
	v_mov_b32_e32 v33, v37
	v_addc_co_u32_e32 v25, vcc, 0, v3, vcc
	v_mov_b32_e32 v23, v63
	global_store_dwordx2 v[18:19], v[38:39], off offset:1712
	global_store_dwordx2 v[24:25], v[32:33], off offset:1488
	global_store_dwordx2 v[24:25], v[22:23], off offset:3424
	s_and_b64 exec, exec, s[2:3]
	s_cbranch_execz .LBB0_30
; %bb.29:
	v_add_u32_e32 v0, 0xffffffa8, v0
	v_cndmask_b32_e64 v0, v0, v42, s[2:3]
	v_mul_i32_i24_e32 v0, 6, v0
	v_lshl_add_u64 v[0:1], v[0:1], 3, s[4:5]
	global_load_dwordx4 v[22:25], v[0:1], off offset:1848
	global_load_dwordx4 v[32:35], v[0:1], off offset:1864
	;; [unrolled: 1-line block ×3, first 2 shown]
	v_mov_b32_e32 v20, v31
	v_mov_b32_e32 v40, v10
	;; [unrolled: 1-line block ×5, first 2 shown]
	s_waitcnt vmcnt(2)
	v_mul_f32_e32 v42, v6, v25
	s_waitcnt vmcnt(1)
	v_mul_f32_e32 v17, v21, v32
	v_mul_f32_e32 v1, v7, v34
	;; [unrolled: 1-line block ×3, first 2 shown]
	s_waitcnt vmcnt(0)
	v_mul_f32_e32 v45, v31, v37
	v_pk_mul_f32 v[6:7], v[10:11], v[22:23] op_sel:[1,0]
	v_mov_b32_e32 v10, v25
	v_mov_b32_e32 v30, v25
	;; [unrolled: 1-line block ×6, first 2 shown]
	v_mul_f32_e32 v43, v9, v33
	v_mov_b32_e32 v44, v37
	v_mov_b32_e32 v46, v37
	;; [unrolled: 1-line block ×3, first 2 shown]
	v_pk_mul_f32 v[32:33], v[16:17], v[38:39] op_sel_hi:[0,1]
	v_fma_f32 v16, v4, v24, -v42
	v_fma_f32 v42, v15, v36, -v45
	v_pk_fma_f32 v[36:37], v[26:27], v[22:23], v[6:7] op_sel:[1,0,1] op_sel_hi:[1,1,0]
	v_pk_fma_f32 v[6:7], v[26:27], v[22:23], v[6:7] op_sel:[1,0,1] op_sel_hi:[1,1,0] neg_lo:[1,0,0] neg_hi:[1,0,0]
	v_pk_mul_f32 v[22:23], v[28:29], v[24:25]
	v_pk_mul_f32 v[20:21], v[20:21], v[34:35]
	v_pk_fma_f32 v[24:25], v[14:15], v[38:39], v[32:33] op_sel:[0,0,1] op_sel_hi:[1,1,0]
	v_pk_fma_f32 v[14:15], v[14:15], v[38:39], v[32:33] op_sel:[0,0,1] op_sel_hi:[0,1,0] neg_lo:[1,0,0] neg_hi:[1,0,0]
	v_pk_fma_f32 v[10:11], v[12:13], v[10:11], v[22:23]
	v_pk_fma_f32 v[12:13], v[12:13], v[30:31], v[22:23] neg_lo:[0,0,1] neg_hi:[0,0,1]
	v_pk_fma_f32 v[22:23], v[0:1], v[44:45], v[20:21]
	v_pk_fma_f32 v[8:9], v[8:9], v[46:47], v[20:21] neg_lo:[0,0,1] neg_hi:[0,0,1]
	v_mov_b32_e32 v37, v7
	v_mov_b32_e32 v25, v15
	;; [unrolled: 1-line block ×6, first 2 shown]
	v_pk_add_f32 v[26:27], v[16:17], v[42:43]
	v_mov_b32_e32 v7, v16
	v_pk_add_f32 v[16:17], v[36:37], v[24:25]
	v_pk_add_f32 v[0:1], v[0:1], v[4:5]
	v_mov_b32_e32 v8, v13
	v_pk_add_f32 v[12:13], v[10:11], v[22:23]
	v_mov_b32_e32 v15, v42
	v_mov_b32_e32 v14, v27
	;; [unrolled: 1-line block ×6, first 2 shown]
	v_pk_add_f32 v[20:21], v[36:37], v[24:25] neg_lo:[0,1] neg_hi:[0,1]
	v_pk_add_f32 v[10:11], v[10:11], v[22:23] neg_lo:[0,1] neg_hi:[0,1]
	v_pk_add_f32 v[22:23], v[26:27], v[0:1]
	v_pk_add_f32 v[6:7], v[6:7], v[14:15] neg_lo:[0,1] neg_hi:[0,1]
	v_pk_add_f32 v[4:5], v[4:5], v[8:9]
	v_mov_b32_e32 v25, v16
	v_mov_b32_e32 v29, v21
	;; [unrolled: 1-line block ×10, first 2 shown]
	v_pk_add_f32 v[8:9], v[10:11], v[6:7]
	v_pk_add_f32 v[30:31], v[30:31], v[6:7] neg_lo:[0,1] neg_hi:[0,1]
	v_pk_add_f32 v[28:29], v[28:29], v[10:11] neg_lo:[0,1] neg_hi:[0,1]
	v_pk_add_f32 v[4:5], v[22:23], v[4:5]
	v_mov_b32_e32 v11, v7
	v_pk_add_f32 v[6:7], v[24:25], v[26:27] neg_lo:[0,1] neg_hi:[0,1]
	v_pk_add_f32 v[14:15], v[0:1], v[14:15] neg_lo:[0,1] neg_hi:[0,1]
	v_pk_mul_f32 v[22:23], v[30:31], s[10:11]
	v_pk_add_f32 v[24:25], v[40:41], v[4:5]
	v_pk_mul_f32 v[28:29], v[28:29], s[6:7]
	v_mov_b32_e32 v27, v12
	v_mov_b32_e32 v1, v16
	v_pk_mul_f32 v[6:7], v[6:7], s[12:13]
	v_pk_mul_f32 v[12:13], v[14:15], s[8:9]
	v_pk_add_f32 v[8:9], v[8:9], v[20:21]
	v_pk_add_f32 v[10:11], v[10:11], v[20:21] neg_lo:[0,1] neg_hi:[0,1]
	v_pk_fma_f32 v[4:5], v[4:5], s[14:15], v[24:25] op_sel_hi:[1,0,1]
	v_pk_fma_f32 v[16:17], v[30:31], s[10:11], v[28:29]
	v_pk_add_f32 v[0:1], v[26:27], v[0:1] neg_lo:[0,1] neg_hi:[0,1]
	v_pk_fma_f32 v[14:15], v[14:15], s[8:9], v[6:7]
	v_mov_b32_e32 v20, v12
	v_mov_b32_e32 v21, v7
	;; [unrolled: 1-line block ×6, first 2 shown]
	v_pk_fma_f32 v[16:17], v[8:9], s[0:1], v[16:17] op_sel_hi:[1,0,1]
	v_pk_add_f32 v[14:15], v[14:15], v[4:5]
	v_pk_fma_f32 v[20:21], v[0:1], s[16:17], v[20:21] op_sel_hi:[1,0,1] neg_lo:[1,0,1] neg_hi:[1,0,1]
	v_pk_fma_f32 v[26:27], v[10:11], s[18:19], v[26:27] op_sel_hi:[1,0,1] neg_lo:[1,0,1] neg_hi:[1,0,1]
	;; [unrolled: 1-line block ×4, first 2 shown]
	v_pk_add_f32 v[20:21], v[20:21], v[4:5]
	v_pk_add_f32 v[0:1], v[0:1], v[4:5]
	v_pk_fma_f32 v[4:5], v[8:9], s[0:1], v[6:7] op_sel_hi:[1,0,1]
	v_pk_fma_f32 v[6:7], v[8:9], s[0:1], v[26:27] op_sel_hi:[1,0,1]
	v_pk_add_f32 v[8:9], v[14:15], v[16:17]
	v_pk_add_f32 v[10:11], v[14:15], v[16:17] neg_lo:[0,1] neg_hi:[0,1]
	v_pk_add_f32 v[12:13], v[20:21], v[6:7]
	v_pk_add_f32 v[6:7], v[20:21], v[6:7] neg_lo:[0,1] neg_hi:[0,1]
	v_pk_add_f32 v[14:15], v[0:1], v[4:5] neg_lo:[0,1] neg_hi:[0,1]
	v_pk_add_f32 v[0:1], v[0:1], v[4:5]
	v_mov_b32_e32 v4, v8
	v_mov_b32_e32 v5, v11
	global_store_dwordx2 v[2:3], v[4:5], off offset:3168
	v_mov_b32_e32 v4, v12
	v_mov_b32_e32 v5, v7
	global_store_dwordx2 v[18:19], v[4:5], off offset:1008
	;; [unrolled: 3-line block ×3, first 2 shown]
	v_add_co_u32_e32 v4, vcc, 0x2000, v2
	v_mov_b32_e32 v1, v15
	s_nop 0
	v_addc_co_u32_e32 v5, vcc, 0, v3, vcc
	global_store_dwordx2 v[4:5], v[0:1], off offset:784
	v_add_co_u32_e32 v0, vcc, 0x3000, v2
	v_mov_b32_e32 v7, v13
	v_mov_b32_e32 v11, v9
	v_addc_co_u32_e32 v1, vcc, 0, v3, vcc
	global_store_dwordx2 v[2:3], v[24:25], off offset:1232
	global_store_dwordx2 v[4:5], v[6:7], off offset:2720
	;; [unrolled: 1-line block ×3, first 2 shown]
	s_endpgm
.LBB0_30:
	s_endpgm
	.section	.rodata,"a",@progbits
	.p2align	6, 0x0
	.amdhsa_kernel fft_rtc_fwd_len1694_factors_11_2_11_7_wgs_154_tpt_154_halfLds_sp_ip_CI_unitstride_sbrr_dirReg
		.amdhsa_group_segment_fixed_size 0
		.amdhsa_private_segment_fixed_size 0
		.amdhsa_kernarg_size 88
		.amdhsa_user_sgpr_count 2
		.amdhsa_user_sgpr_dispatch_ptr 0
		.amdhsa_user_sgpr_queue_ptr 0
		.amdhsa_user_sgpr_kernarg_segment_ptr 1
		.amdhsa_user_sgpr_dispatch_id 0
		.amdhsa_user_sgpr_kernarg_preload_length 0
		.amdhsa_user_sgpr_kernarg_preload_offset 0
		.amdhsa_user_sgpr_private_segment_size 0
		.amdhsa_uses_dynamic_stack 0
		.amdhsa_enable_private_segment 0
		.amdhsa_system_sgpr_workgroup_id_x 1
		.amdhsa_system_sgpr_workgroup_id_y 0
		.amdhsa_system_sgpr_workgroup_id_z 0
		.amdhsa_system_sgpr_workgroup_info 0
		.amdhsa_system_vgpr_workitem_id 0
		.amdhsa_next_free_vgpr 80
		.amdhsa_next_free_sgpr 46
		.amdhsa_accum_offset 80
		.amdhsa_reserve_vcc 1
		.amdhsa_float_round_mode_32 0
		.amdhsa_float_round_mode_16_64 0
		.amdhsa_float_denorm_mode_32 3
		.amdhsa_float_denorm_mode_16_64 3
		.amdhsa_dx10_clamp 1
		.amdhsa_ieee_mode 1
		.amdhsa_fp16_overflow 0
		.amdhsa_tg_split 0
		.amdhsa_exception_fp_ieee_invalid_op 0
		.amdhsa_exception_fp_denorm_src 0
		.amdhsa_exception_fp_ieee_div_zero 0
		.amdhsa_exception_fp_ieee_overflow 0
		.amdhsa_exception_fp_ieee_underflow 0
		.amdhsa_exception_fp_ieee_inexact 0
		.amdhsa_exception_int_div_zero 0
	.end_amdhsa_kernel
	.text
.Lfunc_end0:
	.size	fft_rtc_fwd_len1694_factors_11_2_11_7_wgs_154_tpt_154_halfLds_sp_ip_CI_unitstride_sbrr_dirReg, .Lfunc_end0-fft_rtc_fwd_len1694_factors_11_2_11_7_wgs_154_tpt_154_halfLds_sp_ip_CI_unitstride_sbrr_dirReg
                                        ; -- End function
	.section	.AMDGPU.csdata,"",@progbits
; Kernel info:
; codeLenInByte = 8876
; NumSgprs: 52
; NumVgprs: 80
; NumAgprs: 0
; TotalNumVgprs: 80
; ScratchSize: 0
; MemoryBound: 0
; FloatMode: 240
; IeeeMode: 1
; LDSByteSize: 0 bytes/workgroup (compile time only)
; SGPRBlocks: 6
; VGPRBlocks: 9
; NumSGPRsForWavesPerEU: 52
; NumVGPRsForWavesPerEU: 80
; AccumOffset: 80
; Occupancy: 6
; WaveLimiterHint : 1
; COMPUTE_PGM_RSRC2:SCRATCH_EN: 0
; COMPUTE_PGM_RSRC2:USER_SGPR: 2
; COMPUTE_PGM_RSRC2:TRAP_HANDLER: 0
; COMPUTE_PGM_RSRC2:TGID_X_EN: 1
; COMPUTE_PGM_RSRC2:TGID_Y_EN: 0
; COMPUTE_PGM_RSRC2:TGID_Z_EN: 0
; COMPUTE_PGM_RSRC2:TIDIG_COMP_CNT: 0
; COMPUTE_PGM_RSRC3_GFX90A:ACCUM_OFFSET: 19
; COMPUTE_PGM_RSRC3_GFX90A:TG_SPLIT: 0
	.text
	.p2alignl 6, 3212836864
	.fill 256, 4, 3212836864
	.type	__hip_cuid_bb641ace3ba49963,@object ; @__hip_cuid_bb641ace3ba49963
	.section	.bss,"aw",@nobits
	.globl	__hip_cuid_bb641ace3ba49963
__hip_cuid_bb641ace3ba49963:
	.byte	0                               ; 0x0
	.size	__hip_cuid_bb641ace3ba49963, 1

	.ident	"AMD clang version 19.0.0git (https://github.com/RadeonOpenCompute/llvm-project roc-6.4.0 25133 c7fe45cf4b819c5991fe208aaa96edf142730f1d)"
	.section	".note.GNU-stack","",@progbits
	.addrsig
	.addrsig_sym __hip_cuid_bb641ace3ba49963
	.amdgpu_metadata
---
amdhsa.kernels:
  - .agpr_count:     0
    .args:
      - .actual_access:  read_only
        .address_space:  global
        .offset:         0
        .size:           8
        .value_kind:     global_buffer
      - .offset:         8
        .size:           8
        .value_kind:     by_value
      - .actual_access:  read_only
        .address_space:  global
        .offset:         16
        .size:           8
        .value_kind:     global_buffer
      - .actual_access:  read_only
        .address_space:  global
        .offset:         24
        .size:           8
        .value_kind:     global_buffer
      - .offset:         32
        .size:           8
        .value_kind:     by_value
      - .actual_access:  read_only
        .address_space:  global
        .offset:         40
        .size:           8
        .value_kind:     global_buffer
      - .actual_access:  read_only
        .address_space:  global
        .offset:         48
        .size:           8
        .value_kind:     global_buffer
      - .offset:         56
        .size:           4
        .value_kind:     by_value
      - .actual_access:  read_only
        .address_space:  global
        .offset:         64
        .size:           8
        .value_kind:     global_buffer
      - .actual_access:  read_only
        .address_space:  global
        .offset:         72
        .size:           8
        .value_kind:     global_buffer
      - .address_space:  global
        .offset:         80
        .size:           8
        .value_kind:     global_buffer
    .group_segment_fixed_size: 0
    .kernarg_segment_align: 8
    .kernarg_segment_size: 88
    .language:       OpenCL C
    .language_version:
      - 2
      - 0
    .max_flat_workgroup_size: 154
    .name:           fft_rtc_fwd_len1694_factors_11_2_11_7_wgs_154_tpt_154_halfLds_sp_ip_CI_unitstride_sbrr_dirReg
    .private_segment_fixed_size: 0
    .sgpr_count:     52
    .sgpr_spill_count: 0
    .symbol:         fft_rtc_fwd_len1694_factors_11_2_11_7_wgs_154_tpt_154_halfLds_sp_ip_CI_unitstride_sbrr_dirReg.kd
    .uniform_work_group_size: 1
    .uses_dynamic_stack: false
    .vgpr_count:     80
    .vgpr_spill_count: 0
    .wavefront_size: 64
amdhsa.target:   amdgcn-amd-amdhsa--gfx950
amdhsa.version:
  - 1
  - 2
...

	.end_amdgpu_metadata
